;; amdgpu-corpus repo=ROCm/rocFFT kind=compiled arch=gfx906 opt=O3
	.text
	.amdgcn_target "amdgcn-amd-amdhsa--gfx906"
	.amdhsa_code_object_version 6
	.protected	fft_rtc_fwd_len273_factors_13_3_7_wgs_52_tpt_13_sp_ip_CI_unitstride_sbrr_dirReg ; -- Begin function fft_rtc_fwd_len273_factors_13_3_7_wgs_52_tpt_13_sp_ip_CI_unitstride_sbrr_dirReg
	.globl	fft_rtc_fwd_len273_factors_13_3_7_wgs_52_tpt_13_sp_ip_CI_unitstride_sbrr_dirReg
	.p2align	8
	.type	fft_rtc_fwd_len273_factors_13_3_7_wgs_52_tpt_13_sp_ip_CI_unitstride_sbrr_dirReg,@function
fft_rtc_fwd_len273_factors_13_3_7_wgs_52_tpt_13_sp_ip_CI_unitstride_sbrr_dirReg: ; @fft_rtc_fwd_len273_factors_13_3_7_wgs_52_tpt_13_sp_ip_CI_unitstride_sbrr_dirReg
; %bb.0:
	s_load_dwordx2 s[2:3], s[4:5], 0x50
	s_load_dwordx4 s[8:11], s[4:5], 0x0
	s_load_dwordx2 s[12:13], s[4:5], 0x18
	v_mul_u32_u24_e32 v1, 0x13b2, v0
	v_lshrrev_b32_e32 v9, 16, v1
	v_mov_b32_e32 v3, 0
	s_waitcnt lgkmcnt(0)
	v_cmp_lt_u64_e64 s[0:1], s[10:11], 2
	v_mov_b32_e32 v1, 0
	v_lshl_add_u32 v5, s6, 2, v9
	v_mov_b32_e32 v6, v3
	s_and_b64 vcc, exec, s[0:1]
	v_mov_b32_e32 v2, 0
	s_cbranch_vccnz .LBB0_8
; %bb.1:
	s_load_dwordx2 s[0:1], s[4:5], 0x10
	s_add_u32 s6, s12, 8
	s_addc_u32 s7, s13, 0
	v_mov_b32_e32 v1, 0
	v_mov_b32_e32 v2, 0
	s_waitcnt lgkmcnt(0)
	s_add_u32 s14, s0, 8
	s_addc_u32 s15, s1, 0
	s_mov_b64 s[16:17], 1
.LBB0_2:                                ; =>This Inner Loop Header: Depth=1
	s_load_dwordx2 s[18:19], s[14:15], 0x0
                                        ; implicit-def: $vgpr7_vgpr8
	s_waitcnt lgkmcnt(0)
	v_or_b32_e32 v4, s19, v6
	v_cmp_ne_u64_e32 vcc, 0, v[3:4]
	s_and_saveexec_b64 s[0:1], vcc
	s_xor_b64 s[20:21], exec, s[0:1]
	s_cbranch_execz .LBB0_4
; %bb.3:                                ;   in Loop: Header=BB0_2 Depth=1
	v_cvt_f32_u32_e32 v4, s18
	v_cvt_f32_u32_e32 v7, s19
	s_sub_u32 s0, 0, s18
	s_subb_u32 s1, 0, s19
	v_mac_f32_e32 v4, 0x4f800000, v7
	v_rcp_f32_e32 v4, v4
	v_mul_f32_e32 v4, 0x5f7ffffc, v4
	v_mul_f32_e32 v7, 0x2f800000, v4
	v_trunc_f32_e32 v7, v7
	v_mac_f32_e32 v4, 0xcf800000, v7
	v_cvt_u32_f32_e32 v7, v7
	v_cvt_u32_f32_e32 v4, v4
	v_mul_lo_u32 v8, s0, v7
	v_mul_hi_u32 v10, s0, v4
	v_mul_lo_u32 v12, s1, v4
	v_mul_lo_u32 v11, s0, v4
	v_add_u32_e32 v8, v10, v8
	v_add_u32_e32 v8, v8, v12
	v_mul_hi_u32 v10, v4, v11
	v_mul_lo_u32 v12, v4, v8
	v_mul_hi_u32 v14, v4, v8
	v_mul_hi_u32 v13, v7, v11
	v_mul_lo_u32 v11, v7, v11
	v_mul_hi_u32 v15, v7, v8
	v_add_co_u32_e32 v10, vcc, v10, v12
	v_addc_co_u32_e32 v12, vcc, 0, v14, vcc
	v_mul_lo_u32 v8, v7, v8
	v_add_co_u32_e32 v10, vcc, v10, v11
	v_addc_co_u32_e32 v10, vcc, v12, v13, vcc
	v_addc_co_u32_e32 v11, vcc, 0, v15, vcc
	v_add_co_u32_e32 v8, vcc, v10, v8
	v_addc_co_u32_e32 v10, vcc, 0, v11, vcc
	v_add_co_u32_e32 v4, vcc, v4, v8
	v_addc_co_u32_e32 v7, vcc, v7, v10, vcc
	v_mul_lo_u32 v8, s0, v7
	v_mul_hi_u32 v10, s0, v4
	v_mul_lo_u32 v11, s1, v4
	v_mul_lo_u32 v12, s0, v4
	v_add_u32_e32 v8, v10, v8
	v_add_u32_e32 v8, v8, v11
	v_mul_lo_u32 v13, v4, v8
	v_mul_hi_u32 v14, v4, v12
	v_mul_hi_u32 v15, v4, v8
	;; [unrolled: 1-line block ×3, first 2 shown]
	v_mul_lo_u32 v12, v7, v12
	v_mul_hi_u32 v10, v7, v8
	v_add_co_u32_e32 v13, vcc, v14, v13
	v_addc_co_u32_e32 v14, vcc, 0, v15, vcc
	v_mul_lo_u32 v8, v7, v8
	v_add_co_u32_e32 v12, vcc, v13, v12
	v_addc_co_u32_e32 v11, vcc, v14, v11, vcc
	v_addc_co_u32_e32 v10, vcc, 0, v10, vcc
	v_add_co_u32_e32 v8, vcc, v11, v8
	v_addc_co_u32_e32 v10, vcc, 0, v10, vcc
	v_add_co_u32_e32 v4, vcc, v4, v8
	v_addc_co_u32_e32 v10, vcc, v7, v10, vcc
	v_mad_u64_u32 v[7:8], s[0:1], v5, v10, 0
	v_mul_hi_u32 v11, v5, v4
	v_add_co_u32_e32 v12, vcc, v11, v7
	v_addc_co_u32_e32 v13, vcc, 0, v8, vcc
	v_mad_u64_u32 v[7:8], s[0:1], v6, v4, 0
	v_mad_u64_u32 v[10:11], s[0:1], v6, v10, 0
	v_add_co_u32_e32 v4, vcc, v12, v7
	v_addc_co_u32_e32 v4, vcc, v13, v8, vcc
	v_addc_co_u32_e32 v7, vcc, 0, v11, vcc
	v_add_co_u32_e32 v4, vcc, v4, v10
	v_addc_co_u32_e32 v10, vcc, 0, v7, vcc
	v_mul_lo_u32 v11, s19, v4
	v_mul_lo_u32 v12, s18, v10
	v_mad_u64_u32 v[7:8], s[0:1], s18, v4, 0
	v_add3_u32 v8, v8, v12, v11
	v_sub_u32_e32 v11, v6, v8
	v_mov_b32_e32 v12, s19
	v_sub_co_u32_e32 v7, vcc, v5, v7
	v_subb_co_u32_e64 v11, s[0:1], v11, v12, vcc
	v_subrev_co_u32_e64 v12, s[0:1], s18, v7
	v_subbrev_co_u32_e64 v11, s[0:1], 0, v11, s[0:1]
	v_cmp_le_u32_e64 s[0:1], s19, v11
	v_cndmask_b32_e64 v13, 0, -1, s[0:1]
	v_cmp_le_u32_e64 s[0:1], s18, v12
	v_cndmask_b32_e64 v12, 0, -1, s[0:1]
	v_cmp_eq_u32_e64 s[0:1], s19, v11
	v_cndmask_b32_e64 v11, v13, v12, s[0:1]
	v_add_co_u32_e64 v12, s[0:1], 2, v4
	v_addc_co_u32_e64 v13, s[0:1], 0, v10, s[0:1]
	v_add_co_u32_e64 v14, s[0:1], 1, v4
	v_addc_co_u32_e64 v15, s[0:1], 0, v10, s[0:1]
	v_subb_co_u32_e32 v8, vcc, v6, v8, vcc
	v_cmp_ne_u32_e64 s[0:1], 0, v11
	v_cmp_le_u32_e32 vcc, s19, v8
	v_cndmask_b32_e64 v11, v15, v13, s[0:1]
	v_cndmask_b32_e64 v13, 0, -1, vcc
	v_cmp_le_u32_e32 vcc, s18, v7
	v_cndmask_b32_e64 v7, 0, -1, vcc
	v_cmp_eq_u32_e32 vcc, s19, v8
	v_cndmask_b32_e32 v7, v13, v7, vcc
	v_cmp_ne_u32_e32 vcc, 0, v7
	v_cndmask_b32_e64 v7, v14, v12, s[0:1]
	v_cndmask_b32_e32 v8, v10, v11, vcc
	v_cndmask_b32_e32 v7, v4, v7, vcc
.LBB0_4:                                ;   in Loop: Header=BB0_2 Depth=1
	s_andn2_saveexec_b64 s[0:1], s[20:21]
	s_cbranch_execz .LBB0_6
; %bb.5:                                ;   in Loop: Header=BB0_2 Depth=1
	v_cvt_f32_u32_e32 v4, s18
	s_sub_i32 s20, 0, s18
	v_rcp_iflag_f32_e32 v4, v4
	v_mul_f32_e32 v4, 0x4f7ffffe, v4
	v_cvt_u32_f32_e32 v4, v4
	v_mul_lo_u32 v7, s20, v4
	v_mul_hi_u32 v7, v4, v7
	v_add_u32_e32 v4, v4, v7
	v_mul_hi_u32 v4, v5, v4
	v_mul_lo_u32 v7, v4, s18
	v_add_u32_e32 v8, 1, v4
	v_sub_u32_e32 v7, v5, v7
	v_subrev_u32_e32 v10, s18, v7
	v_cmp_le_u32_e32 vcc, s18, v7
	v_cndmask_b32_e32 v7, v7, v10, vcc
	v_cndmask_b32_e32 v4, v4, v8, vcc
	v_add_u32_e32 v8, 1, v4
	v_cmp_le_u32_e32 vcc, s18, v7
	v_cndmask_b32_e32 v7, v4, v8, vcc
	v_mov_b32_e32 v8, v3
.LBB0_6:                                ;   in Loop: Header=BB0_2 Depth=1
	s_or_b64 exec, exec, s[0:1]
	v_mul_lo_u32 v4, v8, s18
	v_mul_lo_u32 v12, v7, s19
	v_mad_u64_u32 v[10:11], s[0:1], v7, s18, 0
	s_load_dwordx2 s[0:1], s[6:7], 0x0
	s_add_u32 s16, s16, 1
	v_add3_u32 v4, v11, v12, v4
	v_sub_co_u32_e32 v5, vcc, v5, v10
	v_subb_co_u32_e32 v4, vcc, v6, v4, vcc
	s_waitcnt lgkmcnt(0)
	v_mul_lo_u32 v4, s0, v4
	v_mul_lo_u32 v6, s1, v5
	v_mad_u64_u32 v[1:2], s[0:1], s0, v5, v[1:2]
	s_addc_u32 s17, s17, 0
	s_add_u32 s6, s6, 8
	v_add3_u32 v2, v6, v2, v4
	v_mov_b32_e32 v4, s10
	v_mov_b32_e32 v5, s11
	s_addc_u32 s7, s7, 0
	v_cmp_ge_u64_e32 vcc, s[16:17], v[4:5]
	s_add_u32 s14, s14, 8
	s_addc_u32 s15, s15, 0
	s_cbranch_vccnz .LBB0_9
; %bb.7:                                ;   in Loop: Header=BB0_2 Depth=1
	v_mov_b32_e32 v5, v7
	v_mov_b32_e32 v6, v8
	s_branch .LBB0_2
.LBB0_8:
	v_mov_b32_e32 v8, v6
	v_mov_b32_e32 v7, v5
.LBB0_9:
	s_lshl_b64 s[0:1], s[10:11], 3
	s_add_u32 s0, s12, s0
	s_addc_u32 s1, s13, s1
	s_load_dwordx2 s[6:7], s[0:1], 0x0
	s_load_dwordx2 s[10:11], s[4:5], 0x20
	v_and_b32_e32 v3, 3, v9
	s_waitcnt lgkmcnt(0)
	v_mad_u64_u32 v[1:2], s[0:1], s6, v7, v[1:2]
	s_mov_b32 s0, 0x13b13b14
	v_mul_lo_u32 v4, s6, v8
	v_mul_lo_u32 v5, s7, v7
	v_mul_hi_u32 v6, v0, s0
	v_cmp_gt_u64_e32 vcc, s[10:11], v[7:8]
	v_cmp_le_u64_e64 s[0:1], s[10:11], v[7:8]
	v_add3_u32 v2, v5, v2, v4
	v_mul_u32_u24_e32 v4, 13, v6
	v_sub_u32_e32 v48, v0, v4
	v_add_u32_e32 v57, 13, v48
	s_and_saveexec_b64 s[4:5], s[0:1]
	s_xor_b64 s[0:1], exec, s[4:5]
; %bb.10:
	v_add_u32_e32 v57, 13, v48
; %bb.11:
	s_or_saveexec_b64 s[4:5], s[0:1]
	v_mul_u32_u24_e32 v0, 0x111, v3
	v_lshlrev_b64 v[50:51], 3, v[1:2]
	v_lshlrev_b32_e32 v58, 3, v0
	v_lshlrev_b32_e32 v8, 3, v48
	s_xor_b64 exec, exec, s[4:5]
	s_cbranch_execz .LBB0_13
; %bb.12:
	v_mov_b32_e32 v49, 0
	v_mov_b32_e32 v0, s3
	v_add_co_u32_e64 v2, s[0:1], s2, v50
	v_addc_co_u32_e64 v3, s[0:1], v0, v51, s[0:1]
	v_lshlrev_b64 v[0:1], 3, v[48:49]
	v_add_co_u32_e64 v0, s[0:1], v2, v0
	v_addc_co_u32_e64 v1, s[0:1], v3, v1, s[0:1]
	global_load_dwordx2 v[2:3], v[0:1], off
	global_load_dwordx2 v[4:5], v[0:1], off offset:104
	global_load_dwordx2 v[6:7], v[0:1], off offset:208
	global_load_dwordx2 v[9:10], v[0:1], off offset:312
	global_load_dwordx2 v[11:12], v[0:1], off offset:416
	global_load_dwordx2 v[13:14], v[0:1], off offset:520
	global_load_dwordx2 v[15:16], v[0:1], off offset:624
	global_load_dwordx2 v[17:18], v[0:1], off offset:728
	global_load_dwordx2 v[19:20], v[0:1], off offset:832
	global_load_dwordx2 v[21:22], v[0:1], off offset:936
	global_load_dwordx2 v[23:24], v[0:1], off offset:1040
	global_load_dwordx2 v[25:26], v[0:1], off offset:1144
	global_load_dwordx2 v[27:28], v[0:1], off offset:1248
	global_load_dwordx2 v[29:30], v[0:1], off offset:1352
	global_load_dwordx2 v[31:32], v[0:1], off offset:1456
	global_load_dwordx2 v[33:34], v[0:1], off offset:1560
	global_load_dwordx2 v[35:36], v[0:1], off offset:1664
	global_load_dwordx2 v[37:38], v[0:1], off offset:1768
	global_load_dwordx2 v[39:40], v[0:1], off offset:1872
	global_load_dwordx2 v[41:42], v[0:1], off offset:1976
	global_load_dwordx2 v[43:44], v[0:1], off offset:2080
	v_add3_u32 v0, 0, v58, v8
	s_waitcnt vmcnt(19)
	ds_write2_b64 v0, v[2:3], v[4:5] offset1:13
	s_waitcnt vmcnt(17)
	ds_write2_b64 v0, v[6:7], v[9:10] offset0:26 offset1:39
	s_waitcnt vmcnt(15)
	ds_write2_b64 v0, v[11:12], v[13:14] offset0:52 offset1:65
	;; [unrolled: 2-line block ×9, first 2 shown]
	s_waitcnt vmcnt(0)
	ds_write_b64 v0, v[43:44] offset:2080
.LBB0_13:
	s_or_b64 exec, exec, s[4:5]
	v_add_u32_e32 v0, 0, v8
	v_add_u32_e32 v49, v0, v58
	s_waitcnt lgkmcnt(0)
	; wave barrier
	s_waitcnt lgkmcnt(0)
	ds_read2_b64 v[0:3], v49 offset0:13 offset1:21
	ds_read2_b64 v[4:7], v49 offset0:244 offset1:252
	v_add_u32_e32 v62, 0, v58
	v_add_u32_e32 v56, v62, v8
	ds_read2_b64 v[12:15], v49 offset0:34 offset1:42
	ds_read_b64 v[54:55], v56
	ds_read2_b64 v[8:11], v49 offset0:223 offset1:231
	s_mov_b32 s6, 0x3f62ad3f
	s_waitcnt lgkmcnt(3)
	v_sub_f32_e32 v61, v3, v7
	v_add_f32_e32 v59, v6, v2
	v_mul_f32_e32 v60, 0xbeedf032, v61
	s_waitcnt lgkmcnt(0)
	v_sub_f32_e32 v73, v15, v11
	v_fma_f32 v16, v59, s6, -v60
	s_mov_b32 s7, 0x3f116cb1
	v_add_f32_e32 v63, v10, v14
	v_mul_f32_e32 v64, 0xbf52af12, v73
	v_sub_f32_e32 v74, v2, v6
	v_add_f32_e32 v16, v54, v16
	v_fma_f32 v17, v63, s7, -v64
	v_mul_f32_e32 v67, 0xbeedf032, v74
	v_add_f32_e32 v20, v17, v16
	v_add_f32_e32 v65, v7, v3
	v_mov_b32_e32 v16, v67
	v_fmac_f32_e32 v16, 0x3f62ad3f, v65
	ds_read_b64 v[52:53], v49 offset:2120
	v_add_f32_e32 v21, v55, v16
	ds_read2_b64 v[36:39], v49 offset0:55 offset1:63
	ds_read2_b64 v[16:19], v49 offset0:202 offset1:210
	v_sub_f32_e32 v75, v14, v10
	v_mul_f32_e32 v68, 0xbf52af12, v75
	v_add_f32_e32 v66, v11, v15
	v_mov_b32_e32 v22, v68
	s_waitcnt lgkmcnt(0)
	v_sub_f32_e32 v76, v39, v19
	v_fmac_f32_e32 v22, 0x3f116cb1, v66
	s_mov_b32 s10, 0x3df6dbef
	v_add_f32_e32 v69, v18, v38
	v_mul_f32_e32 v70, 0xbf7e222b, v76
	v_add_f32_e32 v24, v22, v21
	v_fma_f32 v21, v69, s10, -v70
	v_add_f32_e32 v25, v21, v20
	ds_read2_b64 v[44:47], v49 offset0:76 offset1:84
	ds_read2_b64 v[20:23], v49 offset0:181 offset1:189
	v_sub_f32_e32 v78, v38, v18
	v_mul_f32_e32 v79, 0xbf7e222b, v78
	v_add_f32_e32 v77, v19, v39
	v_mov_b32_e32 v26, v79
	s_waitcnt lgkmcnt(0)
	v_sub_f32_e32 v81, v47, v23
	v_fmac_f32_e32 v26, 0x3df6dbef, v77
	s_mov_b32 s11, 0xbeb58ec6
	v_add_f32_e32 v80, v22, v46
	v_mul_f32_e32 v82, 0xbf6f5d39, v81
	v_add_f32_e32 v28, v26, v24
	v_fma_f32 v24, v80, s11, -v82
	;; [unrolled: 15-line block ×3, first 2 shown]
	v_add_f32_e32 v2, v54, v2
	v_add_f32_e32 v3, v55, v3
	;; [unrolled: 1-line block ×3, first 2 shown]
	ds_read2_b64 v[32:35], v49 offset0:118 offset1:126
	ds_read2_b64 v[28:31], v49 offset0:139 offset1:147
	v_add_f32_e32 v2, v2, v14
	v_add_f32_e32 v3, v3, v15
	;; [unrolled: 1-line block ×6, first 2 shown]
	v_sub_f32_e32 v90, v42, v26
	v_add_f32_e32 v2, v2, v42
	v_add_f32_e32 v3, v3, v43
	v_mul_f32_e32 v91, 0xbf29c268, v90
	s_waitcnt lgkmcnt(1)
	v_add_f32_e32 v2, v2, v34
	v_add_f32_e32 v3, v3, v35
	v_add_f32_e32 v89, v27, v43
	v_mov_b32_e32 v92, v91
	s_waitcnt lgkmcnt(0)
	v_sub_f32_e32 v94, v35, v31
	v_add_f32_e32 v2, v2, v30
	v_add_f32_e32 v3, v3, v31
	v_fmac_f32_e32 v92, 0xbf3f9e67, v89
	s_mov_b32 s13, 0xbf788fa5
	v_add_f32_e32 v93, v30, v34
	v_mul_f32_e32 v95, 0xbe750f2a, v94
	v_sub_f32_e32 v97, v34, v30
	v_add_f32_e32 v2, v2, v26
	v_add_f32_e32 v3, v3, v27
	;; [unrolled: 1-line block ×3, first 2 shown]
	v_fma_f32 v71, v93, s13, -v95
	v_mul_f32_e32 v98, 0xbe750f2a, v97
	v_add_f32_e32 v2, v2, v22
	v_add_f32_e32 v3, v3, v23
	v_add_f32_e32 v71, v71, v72
	v_add_f32_e32 v96, v31, v35
	v_mov_b32_e32 v72, v98
	v_add_f32_e32 v2, v2, v18
	v_add_f32_e32 v3, v3, v19
	v_fmac_f32_e32 v72, 0xbf788fa5, v96
	v_add_f32_e32 v2, v2, v10
	v_add_f32_e32 v3, v3, v11
	s_movk_i32 s0, 0x68
	v_add_f32_e32 v72, v72, v92
	v_add_f32_e32 v2, v2, v6
	;; [unrolled: 1-line block ×3, first 2 shown]
	v_mad_u32_u24 v10, v48, s0, v62
	v_mul_f32_e32 v11, 0xbf52af12, v61
	s_waitcnt lgkmcnt(0)
	; wave barrier
	ds_write2_b64 v10, v[2:3], v[71:72] offset1:1
	v_fma_f32 v2, v59, s7, -v11
	v_mul_f32_e32 v14, 0xbf6f5d39, v73
	v_add_f32_e32 v2, v54, v2
	v_fma_f32 v3, v63, s11, -v14
	v_mul_f32_e32 v15, 0xbf52af12, v74
	v_add_f32_e32 v2, v3, v2
	v_mov_b32_e32 v3, v15
	v_mul_f32_e32 v18, 0xbf6f5d39, v75
	v_fmac_f32_e32 v3, 0x3f116cb1, v65
	v_mov_b32_e32 v6, v18
	v_add_f32_e32 v3, v55, v3
	v_fmac_f32_e32 v6, 0xbeb58ec6, v66
	v_mul_f32_e32 v19, 0xbe750f2a, v76
	v_add_f32_e32 v3, v6, v3
	v_fma_f32 v6, v69, s13, -v19
	v_mul_f32_e32 v22, 0xbe750f2a, v78
	v_add_f32_e32 v2, v6, v2
	v_mov_b32_e32 v6, v22
	v_fmac_f32_e32 v6, 0xbf788fa5, v77
	v_mul_f32_e32 v23, 0x3f29c268, v81
	v_add_f32_e32 v3, v6, v3
	v_fma_f32 v6, v80, s12, -v23
	v_mul_f32_e32 v26, 0x3f29c268, v84
	v_add_f32_e32 v2, v6, v2
	v_mov_b32_e32 v6, v26
	;; [unrolled: 7-line block ×4, first 2 shown]
	v_fmac_f32_e32 v6, 0x3f62ad3f, v96
	v_mul_f32_e32 v35, 0xbf7e222b, v61
	v_add_f32_e32 v3, v6, v3
	v_fma_f32 v6, v59, s10, -v35
	v_mul_f32_e32 v38, 0xbe750f2a, v73
	v_add_f32_e32 v6, v54, v6
	v_fma_f32 v7, v63, s13, -v38
	v_mul_f32_e32 v39, 0xbf7e222b, v74
	v_add_f32_e32 v6, v7, v6
	v_mov_b32_e32 v7, v39
	v_mul_f32_e32 v42, 0xbe750f2a, v75
	v_fmac_f32_e32 v7, 0x3df6dbef, v65
	v_mov_b32_e32 v43, v42
	v_add_f32_e32 v7, v55, v7
	v_fmac_f32_e32 v43, 0xbf788fa5, v66
	v_add_f32_e32 v7, v43, v7
	v_mul_f32_e32 v43, 0x3f6f5d39, v76
	v_fma_f32 v46, v69, s11, -v43
	v_add_f32_e32 v6, v46, v6
	v_mul_f32_e32 v46, 0x3f6f5d39, v78
	v_mov_b32_e32 v47, v46
	v_fmac_f32_e32 v47, 0xbeb58ec6, v77
	v_add_f32_e32 v7, v47, v7
	v_mul_f32_e32 v47, 0x3eedf032, v81
	v_fma_f32 v62, v80, s6, -v47
	v_add_f32_e32 v6, v62, v6
	v_mul_f32_e32 v62, 0x3eedf032, v84
	v_mov_b32_e32 v71, v62
	;; [unrolled: 7-line block ×4, first 2 shown]
	v_fmac_f32_e32 v100, 0xbf3f9e67, v96
	v_add_f32_e32 v7, v100, v7
	v_mul_f32_e32 v100, 0xbf6f5d39, v61
	ds_write2_b64 v10, v[2:3], v[6:7] offset0:2 offset1:3
	v_fma_f32 v2, v59, s11, -v100
	v_mul_f32_e32 v101, 0x3f29c268, v73
	v_add_f32_e32 v2, v54, v2
	v_fma_f32 v3, v63, s12, -v101
	v_mul_f32_e32 v102, 0xbf6f5d39, v74
	v_add_f32_e32 v2, v3, v2
	v_mov_b32_e32 v3, v102
	v_mul_f32_e32 v103, 0x3f29c268, v75
	v_fmac_f32_e32 v3, 0xbeb58ec6, v65
	v_mov_b32_e32 v6, v103
	v_add_f32_e32 v3, v55, v3
	v_fmac_f32_e32 v6, 0xbf3f9e67, v66
	v_mul_f32_e32 v104, 0x3eedf032, v76
	v_add_f32_e32 v3, v6, v3
	v_fma_f32 v6, v69, s6, -v104
	v_mul_f32_e32 v105, 0x3eedf032, v78
	v_add_f32_e32 v2, v6, v2
	v_mov_b32_e32 v6, v105
	v_fmac_f32_e32 v6, 0x3f62ad3f, v77
	v_mul_f32_e32 v106, 0xbf7e222b, v81
	v_add_f32_e32 v3, v6, v3
	v_fma_f32 v6, v80, s10, -v106
	v_mul_f32_e32 v107, 0xbf7e222b, v84
	v_add_f32_e32 v2, v6, v2
	v_mov_b32_e32 v6, v107
	;; [unrolled: 7-line block ×4, first 2 shown]
	v_fmac_f32_e32 v6, 0x3f116cb1, v96
	v_mul_f32_e32 v112, 0xbf29c268, v61
	v_add_f32_e32 v3, v6, v3
	v_fma_f32 v6, v59, s12, -v112
	v_mul_f32_e32 v113, 0x3f7e222b, v73
	v_add_f32_e32 v6, v54, v6
	v_fma_f32 v7, v63, s10, -v113
	v_mul_f32_e32 v114, 0xbf29c268, v74
	v_add_f32_e32 v6, v7, v6
	v_mov_b32_e32 v7, v114
	v_mul_f32_e32 v115, 0x3f7e222b, v75
	v_fmac_f32_e32 v7, 0xbf3f9e67, v65
	v_mov_b32_e32 v116, v115
	v_add_f32_e32 v7, v55, v7
	v_fmac_f32_e32 v116, 0x3df6dbef, v66
	v_add_f32_e32 v7, v116, v7
	v_mul_f32_e32 v116, 0xbf52af12, v76
	v_fma_f32 v117, v69, s7, -v116
	v_add_f32_e32 v6, v117, v6
	v_mul_f32_e32 v117, 0xbf52af12, v78
	v_mov_b32_e32 v118, v117
	v_fmac_f32_e32 v118, 0x3f116cb1, v77
	v_add_f32_e32 v7, v118, v7
	v_mul_f32_e32 v118, 0x3e750f2a, v81
	v_fma_f32 v119, v80, s13, -v118
	v_add_f32_e32 v6, v119, v6
	v_mul_f32_e32 v119, 0x3e750f2a, v84
	v_mov_b32_e32 v120, v119
	;; [unrolled: 7-line block ×4, first 2 shown]
	v_fmac_f32_e32 v124, 0xbeb58ec6, v96
	v_add_f32_e32 v7, v124, v7
	ds_write2_b64 v10, v[2:3], v[6:7] offset0:4 offset1:5
	v_mul_f32_e32 v6, 0xbe750f2a, v61
	v_fma_f32 v2, v59, s13, -v6
	v_mul_f32_e32 v7, 0x3eedf032, v73
	v_add_f32_e32 v2, v54, v2
	v_fma_f32 v3, v63, s6, -v7
	v_mul_f32_e32 v61, 0xbe750f2a, v74
	v_add_f32_e32 v2, v3, v2
	v_mov_b32_e32 v3, v61
	v_mul_f32_e32 v73, 0x3eedf032, v75
	v_fmac_f32_e32 v3, 0xbf788fa5, v65
	v_mov_b32_e32 v74, v73
	v_add_f32_e32 v3, v55, v3
	v_fmac_f32_e32 v74, 0x3f62ad3f, v66
	v_add_f32_e32 v3, v74, v3
	v_mul_f32_e32 v74, 0xbf29c268, v76
	v_fma_f32 v75, v69, s12, -v74
	v_add_f32_e32 v2, v75, v2
	v_mul_f32_e32 v75, 0xbf29c268, v78
	v_mov_b32_e32 v76, v75
	v_fmac_f32_e32 v76, 0xbf3f9e67, v77
	v_add_f32_e32 v3, v76, v3
	v_mul_f32_e32 v76, 0x3f52af12, v81
	v_fma_f32 v78, v80, s7, -v76
	v_add_f32_e32 v2, v78, v2
	v_mul_f32_e32 v78, 0x3f52af12, v84
	v_mov_b32_e32 v81, v78
	v_fmac_f32_e32 v81, 0x3f116cb1, v83
	v_add_f32_e32 v3, v81, v3
	v_mul_f32_e32 v81, 0xbf6f5d39, v87
	v_fma_f32 v84, v86, s11, -v81
	v_add_f32_e32 v2, v84, v2
	v_mul_f32_e32 v84, 0xbf6f5d39, v90
	v_fmac_f32_e32 v6, 0xbf788fa5, v59
	v_mov_b32_e32 v87, v84
	v_add_f32_e32 v6, v54, v6
	v_fmac_f32_e32 v7, 0x3f62ad3f, v63
	v_fmac_f32_e32 v87, 0xbeb58ec6, v89
	v_add_f32_e32 v6, v7, v6
	v_fma_f32 v7, v65, s13, -v61
	v_add_f32_e32 v3, v87, v3
	v_mul_f32_e32 v87, 0x3f7e222b, v94
	v_add_f32_e32 v7, v55, v7
	v_fma_f32 v61, v66, s6, -v73
	v_fma_f32 v90, v93, s10, -v87
	v_add_f32_e32 v7, v61, v7
	v_fmac_f32_e32 v74, 0xbf3f9e67, v69
	v_fma_f32 v61, v77, s12, -v75
	v_add_f32_e32 v2, v90, v2
	v_mul_f32_e32 v90, 0x3f7e222b, v97
	v_add_f32_e32 v6, v74, v6
	v_add_f32_e32 v7, v61, v7
	v_fmac_f32_e32 v76, 0x3f116cb1, v80
	v_fma_f32 v61, v83, s7, -v78
	v_mov_b32_e32 v94, v90
	v_add_f32_e32 v6, v76, v6
	v_add_f32_e32 v7, v61, v7
	v_fmac_f32_e32 v81, 0xbeb58ec6, v86
	v_fma_f32 v61, v89, s11, -v84
	v_fmac_f32_e32 v94, 0x3df6dbef, v96
	v_add_f32_e32 v6, v81, v6
	v_add_f32_e32 v7, v61, v7
	v_fmac_f32_e32 v87, 0x3df6dbef, v93
	v_fma_f32 v61, v96, s10, -v90
	v_add_f32_e32 v3, v94, v3
	v_add_f32_e32 v6, v87, v6
	;; [unrolled: 1-line block ×3, first 2 shown]
	ds_write2_b64 v10, v[2:3], v[6:7] offset0:6 offset1:7
	v_fma_f32 v3, v65, s11, -v102
	v_add_f32_e32 v3, v55, v3
	v_fma_f32 v6, v66, s12, -v103
	v_add_f32_e32 v3, v6, v3
	;; [unrolled: 2-line block ×4, first 2 shown]
	v_fma_f32 v6, v89, s13, -v109
	v_fmac_f32_e32 v100, 0xbeb58ec6, v59
	v_add_f32_e32 v3, v6, v3
	v_fma_f32 v6, v96, s7, -v111
	v_fmac_f32_e32 v112, 0xbf3f9e67, v59
	v_fma_f32 v7, v65, s12, -v114
	v_add_f32_e32 v2, v54, v100
	v_fmac_f32_e32 v101, 0xbf3f9e67, v63
	v_add_f32_e32 v3, v6, v3
	v_add_f32_e32 v6, v54, v112
	v_fmac_f32_e32 v113, 0x3df6dbef, v63
	v_add_f32_e32 v7, v55, v7
	v_fma_f32 v61, v66, s10, -v115
	v_add_f32_e32 v2, v101, v2
	v_fmac_f32_e32 v104, 0x3f62ad3f, v69
	v_add_f32_e32 v6, v113, v6
	v_add_f32_e32 v7, v61, v7
	v_fmac_f32_e32 v116, 0x3f116cb1, v69
	v_fma_f32 v61, v77, s7, -v117
	v_add_f32_e32 v2, v104, v2
	v_fmac_f32_e32 v106, 0x3df6dbef, v80
	v_add_f32_e32 v6, v116, v6
	v_add_f32_e32 v7, v61, v7
	v_fmac_f32_e32 v118, 0xbf788fa5, v80
	;; [unrolled: 6-line block ×4, first 2 shown]
	v_fma_f32 v61, v96, s11, -v123
	v_add_f32_e32 v2, v110, v2
	v_add_f32_e32 v6, v122, v6
	;; [unrolled: 1-line block ×3, first 2 shown]
	ds_write2_b64 v10, v[6:7], v[2:3] offset0:8 offset1:9
	v_fma_f32 v3, v65, s7, -v15
	v_add_f32_e32 v3, v55, v3
	v_fma_f32 v6, v66, s11, -v18
	v_add_f32_e32 v3, v6, v3
	v_fma_f32 v6, v77, s13, -v22
	v_add_f32_e32 v3, v6, v3
	v_fma_f32 v6, v83, s12, -v26
	v_add_f32_e32 v3, v6, v3
	v_fma_f32 v6, v89, s10, -v30
	v_fmac_f32_e32 v11, 0x3f116cb1, v59
	v_add_f32_e32 v3, v6, v3
	v_fma_f32 v6, v96, s6, -v34
	v_fmac_f32_e32 v35, 0x3df6dbef, v59
	v_fma_f32 v7, v65, s10, -v39
	v_add_f32_e32 v2, v54, v11
	v_fmac_f32_e32 v14, 0xbeb58ec6, v63
	v_add_f32_e32 v3, v6, v3
	v_add_f32_e32 v6, v54, v35
	v_fmac_f32_e32 v38, 0xbf788fa5, v63
	v_add_f32_e32 v7, v55, v7
	v_fma_f32 v11, v66, s13, -v42
	v_add_f32_e32 v2, v14, v2
	v_fmac_f32_e32 v19, 0xbf788fa5, v69
	v_add_f32_e32 v6, v38, v6
	v_add_f32_e32 v7, v11, v7
	v_fmac_f32_e32 v43, 0xbeb58ec6, v69
	v_fma_f32 v11, v77, s11, -v46
	v_add_f32_e32 v2, v19, v2
	v_fmac_f32_e32 v23, 0xbf3f9e67, v80
	v_add_f32_e32 v6, v43, v6
	v_add_f32_e32 v7, v11, v7
	v_fmac_f32_e32 v47, 0x3f62ad3f, v80
	;; [unrolled: 6-line block ×4, first 2 shown]
	v_fma_f32 v11, v96, s12, -v99
	v_add_f32_e32 v2, v31, v2
	v_add_f32_e32 v6, v92, v6
	;; [unrolled: 1-line block ×3, first 2 shown]
	ds_write2_b64 v10, v[6:7], v[2:3] offset0:10 offset1:11
	v_fmac_f32_e32 v60, 0x3f62ad3f, v59
	v_fma_f32 v2, v65, s6, -v67
	v_add_f32_e32 v3, v54, v60
	v_add_f32_e32 v2, v55, v2
	v_fmac_f32_e32 v64, 0x3f116cb1, v63
	v_fma_f32 v6, v66, s7, -v68
	v_add_f32_e32 v3, v64, v3
	v_add_f32_e32 v2, v6, v2
	;; [unrolled: 4-line block ×6, first 2 shown]
	v_cmp_gt_u32_e64 s[0:1], 8, v48
	ds_write_b64 v10, v[2:3] offset:96
	s_and_saveexec_b64 s[4:5], s[0:1]
	s_cbranch_execz .LBB0_15
; %bb.14:
	v_sub_f32_e32 v38, v12, v52
	v_mul_f32_e32 v39, 0xbe750f2a, v38
	v_sub_f32_e32 v42, v36, v4
	v_add_f32_e32 v10, v53, v13
	v_mov_b32_e32 v2, v39
	v_mul_f32_e32 v43, 0x3eedf032, v42
	v_fmac_f32_e32 v2, 0xbf788fa5, v10
	v_add_f32_e32 v11, v5, v37
	v_mov_b32_e32 v3, v43
	v_sub_f32_e32 v46, v44, v8
	v_add_f32_e32 v2, v1, v2
	v_fmac_f32_e32 v3, 0x3f62ad3f, v11
	v_mul_f32_e32 v47, 0xbf29c268, v46
	v_add_f32_e32 v2, v3, v2
	v_add_f32_e32 v14, v9, v45
	v_mov_b32_e32 v3, v47
	v_sub_f32_e32 v54, v40, v16
	v_fmac_f32_e32 v3, 0xbf3f9e67, v14
	v_mul_f32_e32 v55, 0x3f52af12, v54
	v_add_f32_e32 v2, v3, v2
	v_add_f32_e32 v15, v17, v41
	v_mov_b32_e32 v3, v55
	v_sub_f32_e32 v59, v32, v20
	;; [unrolled: 6-line block ×4, first 2 shown]
	v_fmac_f32_e32 v3, 0x3df6dbef, v19
	v_add_f32_e32 v22, v52, v12
	v_mul_f32_e32 v64, 0xbe750f2a, v63
	v_sub_f32_e32 v65, v37, v5
	v_add_f32_e32 v3, v3, v2
	v_fma_f32 v2, v22, s13, -v64
	v_add_f32_e32 v23, v4, v36
	v_mul_f32_e32 v66, 0x3eedf032, v65
	v_sub_f32_e32 v67, v45, v9
	v_add_f32_e32 v2, v0, v2
	v_fma_f32 v6, v23, s6, -v66
	;; [unrolled: 5-line block ×5, first 2 shown]
	v_add_f32_e32 v31, v24, v28
	v_mul_f32_e32 v74, 0x3f7e222b, v73
	v_add_f32_e32 v2, v6, v2
	v_fma_f32 v6, v31, s10, -v74
	v_mul_f32_e32 v75, 0xbf29c268, v38
	v_add_f32_e32 v2, v6, v2
	v_mov_b32_e32 v6, v75
	v_mul_f32_e32 v76, 0x3f7e222b, v42
	v_fmac_f32_e32 v6, 0xbf3f9e67, v10
	v_mov_b32_e32 v7, v76
	v_add_f32_e32 v6, v1, v6
	v_fmac_f32_e32 v7, 0x3df6dbef, v11
	v_mul_f32_e32 v77, 0xbf52af12, v46
	v_add_f32_e32 v6, v7, v6
	v_mov_b32_e32 v7, v77
	v_fmac_f32_e32 v7, 0x3f116cb1, v14
	v_mul_f32_e32 v78, 0x3e750f2a, v54
	v_add_f32_e32 v6, v7, v6
	v_mov_b32_e32 v7, v78
	;; [unrolled: 4-line block ×4, first 2 shown]
	v_fmac_f32_e32 v7, 0xbeb58ec6, v19
	v_mul_f32_e32 v81, 0xbf29c268, v63
	v_add_f32_e32 v7, v7, v6
	v_fma_f32 v6, v22, s12, -v81
	v_mul_f32_e32 v82, 0x3f7e222b, v65
	v_add_f32_e32 v6, v0, v6
	v_fma_f32 v34, v23, s10, -v82
	;; [unrolled: 3-line block ×6, first 2 shown]
	v_mul_f32_e32 v87, 0xbf6f5d39, v38
	v_add_f32_e32 v6, v34, v6
	v_mov_b32_e32 v34, v87
	v_mul_f32_e32 v88, 0x3f29c268, v42
	v_fmac_f32_e32 v34, 0xbeb58ec6, v10
	v_mov_b32_e32 v35, v88
	v_add_f32_e32 v34, v1, v34
	v_fmac_f32_e32 v35, 0xbf3f9e67, v11
	v_mul_f32_e32 v89, 0x3eedf032, v46
	v_add_f32_e32 v34, v35, v34
	v_mov_b32_e32 v35, v89
	v_fmac_f32_e32 v35, 0x3f62ad3f, v14
	v_mul_f32_e32 v90, 0xbf7e222b, v54
	v_add_f32_e32 v34, v35, v34
	v_mov_b32_e32 v35, v90
	;; [unrolled: 4-line block ×4, first 2 shown]
	v_fmac_f32_e32 v35, 0x3f116cb1, v19
	v_mul_f32_e32 v93, 0xbf6f5d39, v63
	v_add_f32_e32 v35, v35, v34
	v_fma_f32 v34, v22, s11, -v93
	v_mul_f32_e32 v94, 0x3f29c268, v65
	v_add_f32_e32 v34, v0, v34
	v_fma_f32 v95, v23, s12, -v94
	v_add_f32_e32 v34, v95, v34
	v_mul_f32_e32 v95, 0x3eedf032, v67
	v_fma_f32 v96, v26, s6, -v95
	v_add_f32_e32 v34, v96, v34
	v_mul_f32_e32 v96, 0xbf7e222b, v69
	v_fma_f32 v97, v27, s10, -v96
	v_add_f32_e32 v34, v97, v34
	v_mul_f32_e32 v97, 0x3e750f2a, v71
	v_fma_f32 v98, v30, s13, -v97
	v_add_f32_e32 v34, v98, v34
	v_mul_f32_e32 v98, 0x3f52af12, v73
	v_fma_f32 v99, v31, s7, -v98
	v_add_f32_e32 v34, v99, v34
	v_mul_f32_e32 v99, 0xbf7e222b, v38
	v_mov_b32_e32 v100, v99
	v_mul_f32_e32 v101, 0xbe750f2a, v42
	v_fmac_f32_e32 v100, 0x3df6dbef, v10
	v_mov_b32_e32 v102, v101
	v_add_f32_e32 v100, v1, v100
	v_fmac_f32_e32 v102, 0xbf788fa5, v11
	v_add_f32_e32 v100, v102, v100
	v_mul_f32_e32 v102, 0x3f6f5d39, v46
	v_mov_b32_e32 v103, v102
	v_fmac_f32_e32 v103, 0xbeb58ec6, v14
	v_add_f32_e32 v100, v103, v100
	v_mul_f32_e32 v103, 0x3eedf032, v54
	v_mov_b32_e32 v104, v103
	v_fmac_f32_e32 v104, 0x3f62ad3f, v15
	v_add_f32_e32 v13, v1, v13
	v_add_f32_e32 v12, v0, v12
	v_mul_f32_e32 v106, 0xbf7e222b, v63
	v_add_f32_e32 v100, v104, v100
	v_mul_f32_e32 v104, 0xbf52af12, v59
	v_add_f32_e32 v37, v13, v37
	v_add_f32_e32 v12, v12, v36
	v_fma_f32 v13, v22, s10, -v106
	v_mul_f32_e32 v36, 0xbe750f2a, v65
	v_mov_b32_e32 v105, v104
	v_add_f32_e32 v13, v0, v13
	v_fma_f32 v107, v23, s13, -v36
	v_fmac_f32_e32 v105, 0x3f116cb1, v18
	v_add_f32_e32 v13, v107, v13
	v_mul_f32_e32 v107, 0x3f6f5d39, v67
	v_add_f32_e32 v100, v105, v100
	v_mul_f32_e32 v105, 0xbf29c268, v61
	v_fma_f32 v108, v26, s11, -v107
	v_add_f32_e32 v108, v108, v13
	v_mov_b32_e32 v13, v105
	v_fmac_f32_e32 v13, 0xbf3f9e67, v19
	v_add_f32_e32 v37, v37, v45
	v_mul_f32_e32 v45, 0x3eedf032, v69
	v_add_f32_e32 v13, v13, v100
	v_add_f32_e32 v44, v12, v44
	v_fma_f32 v12, v27, s6, -v45
	v_mul_f32_e32 v100, 0xbf52af12, v71
	v_add_f32_e32 v12, v12, v108
	v_fma_f32 v108, v30, s7, -v100
	v_add_f32_e32 v12, v108, v12
	v_mul_f32_e32 v108, 0xbf29c268, v73
	v_fma_f32 v109, v31, s12, -v108
	v_add_f32_e32 v12, v109, v12
	v_mul_f32_e32 v109, 0xbf52af12, v38
	v_mov_b32_e32 v110, v109
	v_add_f32_e32 v37, v37, v41
	v_mul_f32_e32 v41, 0xbf6f5d39, v42
	v_fmac_f32_e32 v110, 0x3f116cb1, v10
	v_add_f32_e32 v40, v44, v40
	v_mov_b32_e32 v44, v41
	v_add_f32_e32 v110, v1, v110
	v_fmac_f32_e32 v44, 0xbeb58ec6, v11
	v_add_f32_e32 v44, v44, v110
	v_mul_f32_e32 v110, 0xbe750f2a, v46
	v_mov_b32_e32 v111, v110
	v_fmac_f32_e32 v111, 0xbf788fa5, v14
	v_add_f32_e32 v44, v111, v44
	v_mul_f32_e32 v111, 0x3f29c268, v54
	v_mov_b32_e32 v112, v111
	v_add_f32_e32 v32, v40, v32
	v_fmac_f32_e32 v112, 0xbf3f9e67, v15
	v_add_f32_e32 v33, v37, v33
	v_add_f32_e32 v32, v32, v28
	v_mul_f32_e32 v38, 0xbeedf032, v38
	v_add_f32_e32 v44, v112, v44
	v_mul_f32_e32 v112, 0x3f7e222b, v59
	v_add_f32_e32 v33, v33, v29
	v_add_f32_e32 v32, v32, v24
	v_mov_b32_e32 v24, v38
	v_mul_f32_e32 v42, 0xbf52af12, v42
	v_mov_b32_e32 v113, v112
	v_add_f32_e32 v33, v33, v25
	v_fmac_f32_e32 v24, 0x3f62ad3f, v10
	v_mov_b32_e32 v25, v42
	v_fmac_f32_e32 v113, 0x3df6dbef, v18
	v_mul_f32_e32 v40, 0xbf52af12, v63
	v_add_f32_e32 v24, v1, v24
	v_fmac_f32_e32 v25, 0x3f116cb1, v11
	v_mul_f32_e32 v46, 0xbf7e222b, v46
	v_add_f32_e32 v44, v113, v44
	v_fma_f32 v37, v22, s7, -v40
	v_mul_f32_e32 v113, 0xbf6f5d39, v65
	v_add_f32_e32 v24, v25, v24
	v_mov_b32_e32 v25, v46
	v_add_f32_e32 v37, v0, v37
	v_fma_f32 v114, v23, s11, -v113
	v_mul_f32_e32 v115, 0xbe750f2a, v67
	v_fmac_f32_e32 v25, 0x3df6dbef, v14
	v_mul_f32_e32 v54, 0xbf6f5d39, v54
	v_add_f32_e32 v37, v114, v37
	v_fma_f32 v28, v26, s13, -v115
	v_mul_f32_e32 v116, 0x3f29c268, v69
	v_add_f32_e32 v24, v25, v24
	v_mov_b32_e32 v25, v54
	v_add_f32_e32 v28, v28, v37
	v_fma_f32 v29, v27, s12, -v116
	v_mul_f32_e32 v117, 0x3f7e222b, v71
	v_fmac_f32_e32 v25, 0xbeb58ec6, v15
	v_mul_f32_e32 v59, 0xbf29c268, v59
	v_add_f32_e32 v21, v33, v21
	v_mul_f32_e32 v114, 0x3eedf032, v61
	v_add_f32_e32 v28, v29, v28
	v_fma_f32 v29, v30, s10, -v117
	v_add_f32_e32 v24, v25, v24
	v_mov_b32_e32 v25, v59
	v_add_f32_e32 v17, v21, v17
	v_add_f32_e32 v28, v29, v28
	v_mov_b32_e32 v29, v114
	v_fmac_f32_e32 v25, 0xbf3f9e67, v18
	v_mul_f32_e32 v61, 0xbe750f2a, v61
	v_add_f32_e32 v9, v17, v9
	v_fmac_f32_e32 v29, 0x3f62ad3f, v19
	v_add_f32_e32 v24, v25, v24
	v_mov_b32_e32 v25, v61
	v_add_f32_e32 v5, v9, v5
	v_add_f32_e32 v9, v32, v20
	v_fma_f32 v32, v10, s10, -v99
	v_add_f32_e32 v29, v29, v44
	v_mul_f32_e32 v44, 0x3eedf032, v73
	v_fmac_f32_e32 v25, 0xbf788fa5, v19
	v_mul_f32_e32 v63, 0xbeedf032, v63
	v_add_f32_e32 v32, v1, v32
	v_fma_f32 v33, v11, s13, -v101
	v_fma_f32 v37, v31, s6, -v44
	v_add_f32_e32 v25, v25, v24
	v_fma_f32 v24, v22, s6, -v63
	v_mul_f32_e32 v65, 0xbf52af12, v65
	v_add_f32_e32 v32, v33, v32
	v_fma_f32 v33, v14, s11, -v102
	v_add_f32_e32 v28, v37, v28
	v_add_f32_e32 v24, v0, v24
	v_fma_f32 v37, v23, s7, -v65
	v_mul_f32_e32 v67, 0xbf7e222b, v67
	v_add_f32_e32 v32, v33, v32
	v_fma_f32 v33, v15, s6, -v103
	v_add_f32_e32 v24, v37, v24
	v_fma_f32 v37, v26, s10, -v67
	v_mul_f32_e32 v69, 0xbf6f5d39, v69
	v_add_f32_e32 v32, v33, v32
	v_fma_f32 v33, v18, s7, -v104
	v_add_f32_e32 v24, v37, v24
	v_fma_f32 v37, v27, s11, -v69
	v_mul_f32_e32 v71, 0xbf29c268, v71
	v_add_f32_e32 v9, v9, v16
	v_add_f32_e32 v32, v33, v32
	v_fma_f32 v33, v19, s12, -v105
	v_fmac_f32_e32 v106, 0x3df6dbef, v22
	v_add_f32_e32 v24, v37, v24
	v_fma_f32 v37, v30, s12, -v71
	v_mul_f32_e32 v73, 0xbe750f2a, v73
	v_add_f32_e32 v8, v9, v8
	v_add_f32_e32 v33, v33, v32
	;; [unrolled: 1-line block ×3, first 2 shown]
	v_fmac_f32_e32 v36, 0xbf788fa5, v23
	v_add_f32_e32 v24, v37, v24
	v_fma_f32 v37, v31, s13, -v73
	v_add_f32_e32 v4, v8, v4
	v_fma_f32 v8, v10, s13, -v39
	v_fma_f32 v16, v10, s12, -v75
	;; [unrolled: 1-line block ×3, first 2 shown]
	v_add_f32_e32 v32, v36, v32
	v_fma_f32 v36, v10, s7, -v109
	v_add_f32_e32 v24, v37, v24
	v_add_f32_e32 v8, v1, v8
	v_fma_f32 v9, v11, s6, -v43
	v_add_f32_e32 v16, v1, v16
	v_fma_f32 v17, v11, s10, -v76
	;; [unrolled: 2-line block ×12, first 2 shown]
	v_fma_f32 v10, v10, s6, -v38
	v_add_f32_e32 v8, v9, v8
	v_fma_f32 v9, v18, s11, -v60
	v_add_f32_e32 v16, v17, v16
	v_fma_f32 v17, v18, s6, -v79
	v_add_f32_e32 v20, v21, v20
	v_fma_f32 v21, v18, s13, -v91
	v_add_f32_e32 v36, v37, v36
	v_fma_f32 v37, v18, s10, -v112
	v_add_f32_e32 v1, v1, v10
	v_fma_f32 v10, v11, s7, -v42
	v_add_f32_e32 v8, v9, v8
	v_fma_f32 v9, v19, s10, -v62
	v_fmac_f32_e32 v64, 0xbf788fa5, v22
	v_add_f32_e32 v16, v17, v16
	v_fma_f32 v17, v19, s11, -v80
	v_fmac_f32_e32 v81, 0xbf3f9e67, v22
	v_add_f32_e32 v20, v21, v20
	;; [unrolled: 3-line block ×5, first 2 shown]
	v_add_f32_e32 v8, v0, v64
	v_fmac_f32_e32 v66, 0x3f62ad3f, v23
	v_add_f32_e32 v17, v17, v16
	v_add_f32_e32 v16, v0, v81
	v_fmac_f32_e32 v82, 0x3df6dbef, v23
	v_add_f32_e32 v21, v21, v20
	;; [unrolled: 3-line block ×4, first 2 shown]
	v_fma_f32 v10, v15, s11, -v54
	v_add_f32_e32 v0, v0, v63
	v_fmac_f32_e32 v65, 0x3f116cb1, v23
	v_add_f32_e32 v8, v66, v8
	v_fmac_f32_e32 v68, 0xbf3f9e67, v26
	;; [unrolled: 2-line block ×4, first 2 shown]
	v_fmac_f32_e32 v107, 0xbeb58ec6, v26
	v_add_f32_e32 v36, v113, v36
	v_fmac_f32_e32 v115, 0xbf788fa5, v26
	v_add_f32_e32 v1, v10, v1
	v_fma_f32 v10, v18, s12, -v59
	v_add_f32_e32 v0, v65, v0
	v_fmac_f32_e32 v67, 0x3df6dbef, v26
	v_add_f32_e32 v8, v68, v8
	v_fmac_f32_e32 v70, 0x3f116cb1, v27
	;; [unrolled: 2-line block ×6, first 2 shown]
	v_add_f32_e32 v1, v10, v1
	v_fma_f32 v10, v19, s13, -v61
	v_add_f32_e32 v0, v67, v0
	v_fmac_f32_e32 v69, 0xbeb58ec6, v27
	v_add_f32_e32 v8, v70, v8
	v_fmac_f32_e32 v72, 0xbeb58ec6, v30
	;; [unrolled: 2-line block ×6, first 2 shown]
	v_add_f32_e32 v1, v10, v1
	v_add_f32_e32 v0, v69, v0
	v_fmac_f32_e32 v71, 0xbf3f9e67, v30
	v_mul_i32_i24_e32 v10, 0x68, v57
	v_add_f32_e32 v5, v5, v53
	v_add_f32_e32 v4, v4, v52
	;; [unrolled: 1-line block ×3, first 2 shown]
	v_fmac_f32_e32 v74, 0x3df6dbef, v31
	v_add_f32_e32 v16, v85, v16
	v_fmac_f32_e32 v86, 0xbeb58ec6, v31
	v_add_f32_e32 v20, v97, v20
	;; [unrolled: 2-line block ×5, first 2 shown]
	v_fmac_f32_e32 v73, 0xbf788fa5, v31
	v_add3_u32 v10, 0, v10, v58
	v_add_f32_e32 v8, v74, v8
	v_add_f32_e32 v16, v86, v16
	;; [unrolled: 1-line block ×6, first 2 shown]
	ds_write2_b64 v10, v[4:5], v[24:25] offset1:1
	ds_write2_b64 v10, v[28:29], v[12:13] offset0:2 offset1:3
	ds_write2_b64 v10, v[34:35], v[6:7] offset0:4 offset1:5
	;; [unrolled: 1-line block ×5, first 2 shown]
	ds_write_b64 v10, v[0:1] offset:96
.LBB0_15:
	s_or_b64 exec, exec, s[4:5]
	v_lshlrev_b32_e32 v0, 1, v48
	v_mov_b32_e32 v1, 0
	v_lshlrev_b64 v[2:3], 3, v[0:1]
	v_mov_b32_e32 v47, s9
	v_add_co_u32_e64 v2, s[0:1], s8, v2
	v_addc_co_u32_e64 v3, s[0:1], v47, v3, s[0:1]
	v_add_u16_e32 v0, 26, v48
	s_movk_i32 s0, 0x4f
	s_waitcnt lgkmcnt(0)
	; wave barrier
	s_waitcnt lgkmcnt(0)
	global_load_dwordx4 v[3:6], v[2:3], off
	v_mul_lo_u16_sdwa v2, v0, s0 dst_sel:DWORD dst_unused:UNUSED_PAD src0_sel:BYTE_0 src1_sel:DWORD
	v_add_u16_e32 v11, 39, v48
	v_lshrrev_b16_e32 v2, 10, v2
	v_mul_lo_u16_sdwa v12, v11, s0 dst_sel:DWORD dst_unused:UNUSED_PAD src0_sel:BYTE_0 src1_sel:DWORD
	v_add_u16_e32 v15, 52, v48
	v_mul_lo_u16_e32 v2, 13, v2
	v_lshrrev_b16_e32 v12, 10, v12
	v_mul_lo_u16_sdwa v16, v15, s0 dst_sel:DWORD dst_unused:UNUSED_PAD src0_sel:BYTE_0 src1_sel:DWORD
	v_sub_u16_e32 v0, v0, v2
	v_mov_b32_e32 v2, 4
	v_mul_lo_u16_e32 v12, 13, v12
	v_lshrrev_b16_e32 v16, 10, v16
	v_add_u16_e32 v19, 0x41, v48
	v_lshlrev_b32_sdwa v7, v2, v0 dst_sel:DWORD dst_unused:UNUSED_PAD src0_sel:DWORD src1_sel:BYTE_0
	v_sub_u16_e32 v77, v11, v12
	v_mul_lo_u16_e32 v16, 13, v16
	v_mul_lo_u16_sdwa v20, v19, s0 dst_sel:DWORD dst_unused:UNUSED_PAD src0_sel:BYTE_0 src1_sel:DWORD
	global_load_dwordx4 v[7:10], v7, s[8:9]
	v_lshlrev_b32_sdwa v11, v2, v77 dst_sel:DWORD dst_unused:UNUSED_PAD src0_sel:DWORD src1_sel:BYTE_0
	v_sub_u16_e32 v78, v15, v16
	v_lshrrev_b16_e32 v20, 10, v20
	v_add_u16_e32 v23, 0x4e, v48
	global_load_dwordx4 v[11:14], v11, s[8:9]
	v_lshlrev_b32_sdwa v15, v2, v78 dst_sel:DWORD dst_unused:UNUSED_PAD src0_sel:DWORD src1_sel:BYTE_0
	global_load_dwordx4 v[15:18], v15, s[8:9]
	v_mul_lo_u16_e32 v20, 13, v20
	v_mul_lo_u16_sdwa v24, v23, s0 dst_sel:DWORD dst_unused:UNUSED_PAD src0_sel:BYTE_0 src1_sel:DWORD
	v_sub_u16_e32 v79, v19, v20
	v_lshrrev_b16_e32 v24, 10, v24
	v_lshlrev_b32_sdwa v19, v2, v79 dst_sel:DWORD dst_unused:UNUSED_PAD src0_sel:DWORD src1_sel:BYTE_0
	v_mul_lo_u16_e32 v24, 13, v24
	global_load_dwordx4 v[19:22], v19, s[8:9]
	v_sub_u16_e32 v80, v23, v24
	v_lshlrev_b32_sdwa v2, v2, v80 dst_sel:DWORD dst_unused:UNUSED_PAD src0_sel:DWORD src1_sel:BYTE_0
	global_load_dwordx4 v[23:26], v2, s[8:9]
	ds_read_b64 v[71:72], v56
	ds_read2_b64 v[27:30], v49 offset0:78 offset1:91
	ds_read2_b64 v[31:34], v49 offset0:182 offset1:195
	;; [unrolled: 1-line block ×9, first 2 shown]
	v_lshlrev_b32_e32 v2, 3, v57
	v_add3_u32 v2, 0, v2, v58
	ds_read_b64 v[73:74], v2
	ds_read_b64 v[75:76], v49 offset:2080
	s_waitcnt lgkmcnt(0)
	; wave barrier
	s_waitcnt lgkmcnt(0)
	s_mov_b32 s4, 0xbf3bfb3b
	s_mov_b32 s5, 0xbeae86e6
	s_waitcnt vmcnt(5)
	v_mul_f32_e32 v81, v4, v30
	v_mul_f32_e32 v82, v4, v29
	;; [unrolled: 1-line block ×8, first 2 shown]
	v_fma_f32 v6, v3, v29, -v81
	v_fmac_f32_e32 v82, v3, v30
	v_fma_f32 v30, v35, v3, -v85
	v_fmac_f32_e32 v86, v36, v3
	v_fmac_f32_e32 v84, v32, v5
	;; [unrolled: 1-line block ×3, first 2 shown]
	v_fma_f32 v29, v31, v5, -v83
	v_fma_f32 v31, v33, v5, -v4
	s_waitcnt vmcnt(4)
	v_mul_f32_e32 v3, v38, v8
	v_mul_f32_e32 v32, v37, v8
	v_fma_f32 v34, v37, v7, -v3
	v_mul_f32_e32 v4, v44, v10
	v_mul_f32_e32 v33, v43, v10
	s_waitcnt vmcnt(3)
	v_mul_f32_e32 v3, v46, v14
	v_fmac_f32_e32 v32, v38, v7
	v_fma_f32 v38, v45, v13, -v3
	s_waitcnt vmcnt(2)
	v_mul_f32_e32 v3, v55, v16
	v_fma_f32 v35, v43, v9, -v4
	v_fmac_f32_e32 v33, v44, v9
	v_mul_f32_e32 v43, v45, v14
	v_fma_f32 v44, v54, v15, -v3
	v_mul_f32_e32 v3, v64, v18
	v_mul_f32_e32 v37, v52, v12
	v_fmac_f32_e32 v43, v46, v13
	v_fma_f32 v46, v63, v17, -v3
	s_waitcnt vmcnt(1)
	v_mul_f32_e32 v3, v68, v20
	v_mul_f32_e32 v5, v53, v12
	v_fmac_f32_e32 v37, v53, v11
	v_mul_f32_e32 v45, v54, v16
	v_fma_f32 v53, v67, v19, -v3
	v_mul_f32_e32 v3, v66, v22
	v_fma_f32 v36, v52, v11, -v5
	v_fmac_f32_e32 v45, v55, v15
	v_mul_f32_e32 v52, v63, v18
	v_fma_f32 v55, v65, v21, -v3
	s_waitcnt vmcnt(0)
	v_mul_f32_e32 v3, v70, v24
	v_fmac_f32_e32 v52, v64, v17
	v_mul_f32_e32 v63, v65, v22
	v_fma_f32 v64, v69, v23, -v3
	v_mul_f32_e32 v3, v76, v26
	v_add_f32_e32 v4, v6, v29
	v_fmac_f32_e32 v63, v66, v21
	v_fma_f32 v66, v75, v25, -v3
	v_add_f32_e32 v3, v71, v6
	v_fma_f32 v71, -0.5, v4, v71
	v_sub_f32_e32 v4, v82, v84
	v_mov_b32_e32 v5, v71
	v_add_f32_e32 v7, v82, v84
	v_fmac_f32_e32 v5, 0x3f5db3d7, v4
	v_fmac_f32_e32 v71, 0xbf5db3d7, v4
	v_add_f32_e32 v4, v72, v82
	v_fmac_f32_e32 v72, -0.5, v7
	v_sub_f32_e32 v7, v6, v29
	v_mov_b32_e32 v6, v72
	v_add_f32_e32 v8, v30, v31
	v_fmac_f32_e32 v6, 0xbf5db3d7, v7
	v_fmac_f32_e32 v72, 0x3f5db3d7, v7
	v_add_f32_e32 v7, v73, v30
	v_fma_f32 v73, -0.5, v8, v73
	v_sub_f32_e32 v8, v86, v87
	v_mov_b32_e32 v9, v73
	v_add_f32_e32 v10, v86, v87
	v_add_f32_e32 v14, v32, v33
	v_fmac_f32_e32 v9, 0x3f5db3d7, v8
	v_fmac_f32_e32 v73, 0xbf5db3d7, v8
	v_add_f32_e32 v8, v74, v86
	v_fmac_f32_e32 v74, -0.5, v10
	v_add_f32_e32 v12, v34, v35
	v_fma_f32 v14, -0.5, v14, v40
	v_mul_f32_e32 v65, v69, v24
	v_add_f32_e32 v3, v3, v29
	v_add_f32_e32 v4, v4, v84
	v_sub_f32_e32 v11, v30, v31
	v_mov_b32_e32 v10, v74
	v_fma_f32 v13, -0.5, v12, v39
	v_sub_f32_e32 v17, v34, v35
	v_mov_b32_e32 v16, v14
	v_add_f32_e32 v18, v36, v38
	v_add_f32_e32 v24, v45, v52
	v_mul_f32_e32 v54, v67, v20
	v_add_f32_e32 v7, v7, v31
	v_add_f32_e32 v8, v8, v87
	v_fmac_f32_e32 v10, 0xbf5db3d7, v11
	v_fmac_f32_e32 v74, 0x3f5db3d7, v11
	v_sub_f32_e32 v12, v32, v33
	v_mov_b32_e32 v15, v13
	v_fmac_f32_e32 v16, 0xbf5db3d7, v17
	v_fmac_f32_e32 v14, 0x3f5db3d7, v17
	v_add_f32_e32 v17, v41, v36
	v_fma_f32 v41, -0.5, v18, v41
	v_fma_f32 v24, -0.5, v24, v60
	ds_write2_b64 v49, v[3:4], v[5:6] offset1:13
	ds_write2_b64 v49, v[71:72], v[7:8] offset0:26 offset1:39
	ds_write2_b64 v49, v[9:10], v[73:74] offset0:52 offset1:65
	v_mov_b32_e32 v3, 3
	v_fmac_f32_e32 v54, v68, v19
	v_mul_f32_e32 v67, v75, v26
	v_add_f32_e32 v11, v39, v34
	v_fmac_f32_e32 v15, 0x3f5db3d7, v12
	v_fmac_f32_e32 v13, 0xbf5db3d7, v12
	v_add_f32_e32 v12, v40, v32
	v_sub_f32_e32 v18, v37, v43
	v_mov_b32_e32 v19, v41
	v_add_f32_e32 v20, v37, v43
	v_sub_f32_e32 v29, v44, v46
	v_mov_b32_e32 v26, v24
	v_add_f32_e32 v30, v53, v55
	v_lshlrev_b32_sdwa v0, v3, v0 dst_sel:DWORD dst_unused:UNUSED_PAD src0_sel:DWORD src1_sel:BYTE_0
	v_add_f32_e32 v11, v11, v35
	v_add_f32_e32 v12, v12, v33
	v_fmac_f32_e32 v19, 0x3f5db3d7, v18
	v_fmac_f32_e32 v41, 0xbf5db3d7, v18
	v_add_f32_e32 v18, v42, v37
	v_fmac_f32_e32 v42, -0.5, v20
	v_add_f32_e32 v22, v44, v46
	v_fmac_f32_e32 v26, 0xbf5db3d7, v29
	v_fmac_f32_e32 v24, 0x3f5db3d7, v29
	v_add_f32_e32 v29, v61, v53
	v_fma_f32 v61, -0.5, v30, v61
	v_add3_u32 v0, 0, v0, v58
	v_fmac_f32_e32 v65, v70, v23
	v_sub_f32_e32 v21, v36, v38
	v_mov_b32_e32 v20, v42
	v_fma_f32 v23, -0.5, v22, v59
	v_sub_f32_e32 v30, v54, v63
	v_mov_b32_e32 v31, v61
	v_add_f32_e32 v32, v54, v63
	ds_write2_b64 v0, v[11:12], v[15:16] offset0:78 offset1:91
	ds_write_b64 v0, v[13:14] offset:832
	v_lshlrev_b32_sdwa v0, v3, v77 dst_sel:DWORD dst_unused:UNUSED_PAD src0_sel:DWORD src1_sel:BYTE_0
	v_fmac_f32_e32 v67, v76, v25
	v_add_f32_e32 v17, v17, v38
	v_add_f32_e32 v18, v18, v43
	v_fmac_f32_e32 v20, 0xbf5db3d7, v21
	v_sub_f32_e32 v22, v45, v52
	v_mov_b32_e32 v25, v23
	v_fmac_f32_e32 v31, 0x3f5db3d7, v30
	v_fmac_f32_e32 v61, 0xbf5db3d7, v30
	v_add_f32_e32 v30, v62, v54
	v_fmac_f32_e32 v62, -0.5, v32
	v_add3_u32 v0, 0, v0, v58
	v_fmac_f32_e32 v42, 0x3f5db3d7, v21
	v_add_f32_e32 v21, v59, v44
	v_fmac_f32_e32 v25, 0x3f5db3d7, v22
	v_fmac_f32_e32 v23, 0xbf5db3d7, v22
	v_add_f32_e32 v22, v60, v45
	v_sub_f32_e32 v33, v53, v55
	v_mov_b32_e32 v32, v62
	v_add_f32_e32 v34, v64, v66
	ds_write2_b64 v0, v[17:18], v[19:20] offset0:117 offset1:130
	ds_write_b64 v0, v[41:42] offset:1144
	v_lshlrev_b32_sdwa v0, v3, v78 dst_sel:DWORD dst_unused:UNUSED_PAD src0_sel:DWORD src1_sel:BYTE_0
	v_add_f32_e32 v21, v21, v46
	v_add_f32_e32 v22, v22, v52
	v_fmac_f32_e32 v32, 0xbf5db3d7, v33
	v_fmac_f32_e32 v62, 0x3f5db3d7, v33
	v_add_f32_e32 v33, v27, v64
	v_fma_f32 v27, -0.5, v34, v27
	v_add3_u32 v0, 0, v0, v58
	v_sub_f32_e32 v34, v65, v67
	v_mov_b32_e32 v35, v27
	v_add_f32_e32 v36, v65, v67
	ds_write2_b64 v0, v[21:22], v[25:26] offset0:156 offset1:169
	ds_write_b64 v0, v[23:24] offset:1456
	v_lshlrev_b32_sdwa v0, v3, v79 dst_sel:DWORD dst_unused:UNUSED_PAD src0_sel:DWORD src1_sel:BYTE_0
	v_add_f32_e32 v29, v29, v55
	v_add_f32_e32 v30, v30, v63
	v_fmac_f32_e32 v35, 0x3f5db3d7, v34
	v_fmac_f32_e32 v27, 0xbf5db3d7, v34
	v_add_f32_e32 v34, v28, v65
	v_fmac_f32_e32 v28, -0.5, v36
	v_add3_u32 v0, 0, v0, v58
	v_sub_f32_e32 v37, v64, v66
	v_mov_b32_e32 v36, v28
	ds_write2_b64 v0, v[29:30], v[31:32] offset0:195 offset1:208
	ds_write_b64 v0, v[61:62] offset:1768
	v_lshlrev_b32_sdwa v0, v3, v80 dst_sel:DWORD dst_unused:UNUSED_PAD src0_sel:DWORD src1_sel:BYTE_0
	v_add_f32_e32 v33, v33, v66
	v_add_f32_e32 v34, v34, v67
	v_fmac_f32_e32 v36, 0xbf5db3d7, v37
	v_add3_u32 v0, 0, v0, v58
	v_fmac_f32_e32 v28, 0x3f5db3d7, v37
	ds_write2_b64 v0, v[33:34], v[35:36] offset0:234 offset1:247
	ds_write_b64 v0, v[27:28] offset:2080
	v_mul_u32_u24_e32 v0, 6, v48
	v_lshlrev_b32_e32 v41, 3, v0
	s_waitcnt lgkmcnt(0)
	; wave barrier
	s_waitcnt lgkmcnt(0)
	global_load_dwordx4 v[3:6], v41, s[8:9] offset:208
	global_load_dwordx4 v[7:10], v41, s[8:9] offset:224
	;; [unrolled: 1-line block ×3, first 2 shown]
	v_mul_i32_i24_e32 v0, 6, v57
	v_lshlrev_b64 v[15:16], 3, v[0:1]
	v_add_co_u32_e64 v39, s[0:1], s8, v15
	v_addc_co_u32_e64 v40, s[0:1], v47, v16, s[0:1]
	global_load_dwordx4 v[15:18], v[39:40], off offset:208
	global_load_dwordx4 v[19:22], v[39:40], off offset:224
	;; [unrolled: 1-line block ×3, first 2 shown]
	global_load_dwordx4 v[27:30], v41, s[8:9] offset:1456
	global_load_dwordx4 v[31:34], v41, s[8:9] offset:1472
	;; [unrolled: 1-line block ×3, first 2 shown]
	ds_read_b64 v[81:82], v56
	ds_read2_b64 v[39:42], v49 offset0:26 offset1:39
	ds_read2_b64 v[43:46], v49 offset0:78 offset1:91
	;; [unrolled: 1-line block ×9, first 2 shown]
	ds_read_b64 v[83:84], v2
	ds_read_b64 v[85:86], v49 offset:2080
	s_mov_b32 s0, 0x3f5ff5aa
	s_mov_b32 s1, 0x3f3bfb3b
	s_waitcnt lgkmcnt(0)
	; wave barrier
	s_waitcnt vmcnt(8) lgkmcnt(0)
	v_mul_f32_e32 v0, v4, v42
	v_mul_f32_e32 v4, v4, v41
	v_fma_f32 v0, v3, v41, -v0
	v_fmac_f32_e32 v4, v3, v42
	v_mul_f32_e32 v3, v6, v44
	v_mul_f32_e32 v6, v6, v43
	v_fma_f32 v3, v5, v43, -v3
	v_fmac_f32_e32 v6, v5, v44
	s_waitcnt vmcnt(7)
	v_mul_f32_e32 v5, v8, v55
	v_mul_f32_e32 v8, v8, v54
	v_fma_f32 v5, v7, v54, -v5
	v_fmac_f32_e32 v8, v7, v55
	v_mul_f32_e32 v7, v10, v58
	v_mul_f32_e32 v10, v10, v57
	v_fma_f32 v7, v9, v57, -v7
	v_fmac_f32_e32 v10, v9, v58
	s_waitcnt vmcnt(6)
	v_mul_f32_e32 v9, v64, v12
	v_mul_f32_e32 v12, v63, v12
	v_fma_f32 v9, v63, v11, -v9
	v_fmac_f32_e32 v12, v64, v11
	v_mul_f32_e32 v11, v66, v14
	v_mul_f32_e32 v14, v65, v14
	v_fma_f32 v11, v65, v13, -v11
	v_fmac_f32_e32 v14, v66, v13
	s_waitcnt vmcnt(5)
	v_mul_f32_e32 v13, v70, v16
	v_fma_f32 v41, v69, v15, -v13
	v_mul_f32_e32 v13, v46, v18
	v_fma_f32 v43, v45, v17, -v13
	v_mul_f32_e32 v18, v45, v18
	s_waitcnt vmcnt(4)
	v_mul_f32_e32 v13, v74, v20
	v_fmac_f32_e32 v18, v46, v17
	v_fma_f32 v17, v73, v19, -v13
	v_mul_f32_e32 v20, v73, v20
	v_mul_f32_e32 v13, v60, v22
	v_fmac_f32_e32 v20, v74, v19
	v_fma_f32 v19, v59, v21, -v13
	v_mul_f32_e32 v22, v59, v22
	s_waitcnt vmcnt(3)
	v_mul_f32_e32 v13, v78, v24
	v_fmac_f32_e32 v22, v60, v21
	v_fma_f32 v21, v77, v23, -v13
	v_mul_f32_e32 v24, v77, v24
	v_mul_f32_e32 v13, v68, v26
	v_fmac_f32_e32 v24, v78, v23
	v_fma_f32 v23, v67, v25, -v13
	s_waitcnt vmcnt(2)
	v_mul_f32_e32 v13, v72, v28
	v_fma_f32 v44, v71, v27, -v13
	v_mul_f32_e32 v13, v53, v30
	v_fma_f32 v46, v52, v29, -v13
	s_waitcnt vmcnt(1)
	v_mul_f32_e32 v13, v76, v32
	v_mul_f32_e32 v47, v52, v30
	v_fma_f32 v52, v75, v31, -v13
	v_mul_f32_e32 v32, v75, v32
	v_mul_f32_e32 v13, v62, v34
	v_fmac_f32_e32 v32, v76, v31
	v_fma_f32 v31, v61, v33, -v13
	v_mul_f32_e32 v34, v61, v34
	s_waitcnt vmcnt(0)
	v_mul_f32_e32 v13, v80, v36
	v_fmac_f32_e32 v34, v62, v33
	v_fma_f32 v33, v79, v35, -v13
	v_mul_f32_e32 v36, v79, v36
	v_mul_f32_e32 v13, v86, v38
	;; [unrolled: 1-line block ×3, first 2 shown]
	v_fmac_f32_e32 v36, v80, v35
	v_fma_f32 v35, v85, v37, -v13
	v_add_f32_e32 v13, v0, v11
	v_sub_f32_e32 v0, v0, v11
	v_add_f32_e32 v11, v3, v9
	v_fmac_f32_e32 v42, v70, v15
	v_add_f32_e32 v15, v4, v14
	v_sub_f32_e32 v4, v4, v14
	v_add_f32_e32 v14, v6, v12
	v_sub_f32_e32 v3, v3, v9
	v_sub_f32_e32 v6, v6, v12
	v_add_f32_e32 v9, v5, v7
	v_add_f32_e32 v12, v8, v10
	v_sub_f32_e32 v5, v7, v5
	v_sub_f32_e32 v7, v10, v8
	v_add_f32_e32 v8, v11, v13
	v_mul_f32_e32 v45, v71, v28
	v_mul_f32_e32 v38, v85, v38
	v_add_f32_e32 v10, v14, v15
	v_add_f32_e32 v8, v9, v8
	v_mul_f32_e32 v26, v67, v26
	v_fmac_f32_e32 v45, v72, v27
	v_fmac_f32_e32 v47, v53, v29
	;; [unrolled: 1-line block ×3, first 2 shown]
	v_sub_f32_e32 v16, v11, v13
	v_sub_f32_e32 v13, v13, v9
	;; [unrolled: 1-line block ×3, first 2 shown]
	v_add_f32_e32 v27, v5, v3
	v_add_f32_e32 v28, v7, v6
	v_sub_f32_e32 v29, v5, v3
	v_sub_f32_e32 v37, v3, v0
	v_add_f32_e32 v9, v12, v10
	v_add_f32_e32 v3, v8, v81
	v_fmac_f32_e32 v26, v68, v25
	v_sub_f32_e32 v25, v14, v15
	v_sub_f32_e32 v15, v15, v12
	;; [unrolled: 1-line block ×6, first 2 shown]
	v_add_f32_e32 v10, v28, v4
	v_add_f32_e32 v4, v9, v82
	v_mov_b32_e32 v54, v3
	v_sub_f32_e32 v5, v0, v5
	v_add_f32_e32 v0, v27, v0
	v_mul_f32_e32 v12, 0x3f4a47b2, v13
	v_mul_f32_e32 v13, 0x3f4a47b2, v15
	v_mul_f32_e32 v15, 0x3d64c772, v11
	v_mul_f32_e32 v27, 0x3d64c772, v14
	v_mul_f32_e32 v28, 0xbf08b237, v29
	v_mul_f32_e32 v29, 0xbf08b237, v30
	v_mul_f32_e32 v30, 0x3f5ff5aa, v37
	v_fmac_f32_e32 v54, 0xbf955555, v8
	v_mov_b32_e32 v8, v4
	v_mul_f32_e32 v53, 0x3f5ff5aa, v6
	v_fmac_f32_e32 v8, 0xbf955555, v9
	v_fma_f32 v9, v16, s1, -v15
	v_fma_f32 v15, v25, s1, -v27
	;; [unrolled: 1-line block ×3, first 2 shown]
	v_fmac_f32_e32 v12, 0x3d64c772, v11
	v_fma_f32 v11, v25, s4, -v13
	v_fmac_f32_e32 v13, 0x3d64c772, v14
	v_fma_f32 v14, v37, s0, -v28
	v_fma_f32 v25, v6, s0, -v29
	;; [unrolled: 1-line block ×3, first 2 shown]
	v_fmac_f32_e32 v28, 0x3eae86e6, v5
	v_fmac_f32_e32 v29, 0x3eae86e6, v7
	v_fma_f32 v30, v7, s5, -v53
	v_add_f32_e32 v37, v12, v54
	v_add_f32_e32 v53, v13, v8
	v_add_f32_e32 v12, v9, v54
	v_add_f32_e32 v13, v15, v8
	v_add_f32_e32 v15, v16, v54
	v_add_f32_e32 v16, v11, v8
	v_fmac_f32_e32 v14, 0x3ee1c552, v0
	v_fmac_f32_e32 v25, 0x3ee1c552, v10
	;; [unrolled: 1-line block ×6, first 2 shown]
	v_sub_f32_e32 v8, v16, v27
	v_sub_f32_e32 v9, v12, v25
	v_add_f32_e32 v10, v14, v13
	v_add_f32_e32 v11, v25, v12
	v_sub_f32_e32 v12, v13, v14
	v_add_f32_e32 v14, v27, v16
	v_add_f32_e32 v0, v41, v23
	;; [unrolled: 1-line block ×4, first 2 shown]
	v_sub_f32_e32 v6, v53, v28
	v_add_f32_e32 v7, v30, v15
	v_sub_f32_e32 v13, v15, v30
	v_sub_f32_e32 v15, v37, v29
	v_add_f32_e32 v16, v28, v53
	v_add_f32_e32 v25, v42, v26
	;; [unrolled: 1-line block ×3, first 2 shown]
	v_sub_f32_e32 v18, v18, v24
	v_add_f32_e32 v24, v17, v19
	v_add_f32_e32 v29, v20, v22
	v_sub_f32_e32 v17, v19, v17
	v_sub_f32_e32 v19, v22, v20
	v_add_f32_e32 v20, v27, v0
	v_sub_f32_e32 v23, v41, v23
	v_sub_f32_e32 v21, v43, v21
	v_add_f32_e32 v22, v28, v25
	v_add_f32_e32 v20, v24, v20
	v_sub_f32_e32 v26, v42, v26
	v_add_f32_e32 v41, v17, v21
	v_sub_f32_e32 v43, v17, v21
	v_sub_f32_e32 v54, v23, v17
	v_add_f32_e32 v22, v29, v22
	v_add_f32_e32 v17, v20, v83
	v_sub_f32_e32 v30, v27, v0
	v_sub_f32_e32 v37, v28, v25
	;; [unrolled: 1-line block ×6, first 2 shown]
	v_add_f32_e32 v42, v19, v18
	v_sub_f32_e32 v53, v19, v18
	v_sub_f32_e32 v21, v21, v23
	;; [unrolled: 1-line block ×3, first 2 shown]
	v_add_f32_e32 v18, v22, v84
	v_mov_b32_e32 v57, v17
	v_sub_f32_e32 v19, v26, v19
	v_add_f32_e32 v23, v41, v23
	v_add_f32_e32 v24, v42, v26
	v_mul_f32_e32 v0, 0x3f4a47b2, v0
	v_mul_f32_e32 v25, 0x3f4a47b2, v25
	;; [unrolled: 1-line block ×8, first 2 shown]
	v_fmac_f32_e32 v57, 0xbf955555, v20
	v_mov_b32_e32 v20, v18
	v_fmac_f32_e32 v20, 0xbf955555, v22
	v_fma_f32 v22, v30, s1, -v26
	v_fma_f32 v26, v37, s1, -v29
	;; [unrolled: 1-line block ×3, first 2 shown]
	v_fmac_f32_e32 v0, 0x3d64c772, v27
	v_fma_f32 v27, v37, s4, -v25
	v_fmac_f32_e32 v25, 0x3d64c772, v28
	v_fma_f32 v28, v21, s0, -v41
	;; [unrolled: 2-line block ×4, first 2 shown]
	v_fma_f32 v43, v19, s5, -v53
	v_add_f32_e32 v0, v0, v57
	v_add_f32_e32 v53, v25, v20
	;; [unrolled: 1-line block ×4, first 2 shown]
	v_fmac_f32_e32 v41, 0x3ee1c552, v23
	v_fmac_f32_e32 v42, 0x3ee1c552, v24
	;; [unrolled: 1-line block ×4, first 2 shown]
	v_add_f32_e32 v26, v26, v20
	v_add_f32_e32 v54, v27, v20
	v_fmac_f32_e32 v28, 0x3ee1c552, v23
	v_fmac_f32_e32 v37, 0x3ee1c552, v23
	v_add_f32_e32 v19, v42, v0
	v_sub_f32_e32 v20, v53, v41
	v_add_f32_e32 v21, v43, v29
	v_sub_f32_e32 v23, v25, v30
	;; [unrolled: 2-line block ×3, first 2 shown]
	v_sub_f32_e32 v29, v0, v42
	v_add_f32_e32 v30, v41, v53
	v_add_f32_e32 v0, v44, v35
	;; [unrolled: 1-line block ×3, first 2 shown]
	v_sub_f32_e32 v22, v54, v37
	v_add_f32_e32 v24, v28, v26
	v_sub_f32_e32 v26, v26, v28
	v_add_f32_e32 v28, v37, v54
	v_add_f32_e32 v37, v45, v38
	v_sub_f32_e32 v35, v44, v35
	v_add_f32_e32 v42, v47, v36
	v_add_f32_e32 v43, v52, v31
	;; [unrolled: 1-line block ×3, first 2 shown]
	v_sub_f32_e32 v32, v34, v32
	v_add_f32_e32 v34, v41, v0
	v_sub_f32_e32 v38, v45, v38
	v_sub_f32_e32 v33, v46, v33
	;; [unrolled: 1-line block ×3, first 2 shown]
	v_add_f32_e32 v45, v42, v37
	v_add_f32_e32 v34, v43, v34
	v_sub_f32_e32 v36, v47, v36
	v_sub_f32_e32 v46, v41, v0
	;; [unrolled: 1-line block ×4, first 2 shown]
	v_add_f32_e32 v52, v31, v33
	v_sub_f32_e32 v54, v31, v33
	v_sub_f32_e32 v57, v35, v31
	v_add_f32_e32 v43, v44, v45
	v_add_f32_e32 v31, v34, v39
	v_sub_f32_e32 v47, v42, v37
	v_sub_f32_e32 v37, v37, v44
	;; [unrolled: 1-line block ×3, first 2 shown]
	v_add_f32_e32 v53, v32, v36
	v_sub_f32_e32 v55, v32, v36
	v_sub_f32_e32 v58, v38, v32
	;; [unrolled: 1-line block ×4, first 2 shown]
	v_add_f32_e32 v32, v43, v40
	v_mul_f32_e32 v44, 0xbf08b237, v54
	v_mov_b32_e32 v54, v31
	v_add_f32_e32 v35, v52, v35
	v_add_f32_e32 v38, v53, v38
	v_mul_f32_e32 v0, 0x3f4a47b2, v0
	v_mul_f32_e32 v37, 0x3f4a47b2, v37
	;; [unrolled: 1-line block ×7, first 2 shown]
	v_fmac_f32_e32 v54, 0xbf955555, v34
	v_mov_b32_e32 v34, v32
	v_fmac_f32_e32 v34, 0xbf955555, v43
	v_fma_f32 v39, v46, s1, -v39
	v_fma_f32 v40, v47, s1, -v40
	;; [unrolled: 1-line block ×3, first 2 shown]
	v_fmac_f32_e32 v0, 0x3d64c772, v41
	v_fma_f32 v41, v47, s4, -v37
	v_fmac_f32_e32 v37, 0x3d64c772, v42
	v_fma_f32 v42, v33, s0, -v44
	;; [unrolled: 2-line block ×4, first 2 shown]
	v_fma_f32 v52, v58, s5, -v53
	v_add_f32_e32 v0, v0, v54
	v_add_f32_e32 v53, v37, v34
	;; [unrolled: 1-line block ×6, first 2 shown]
	v_fmac_f32_e32 v44, 0x3ee1c552, v35
	v_fmac_f32_e32 v45, 0x3ee1c552, v38
	;; [unrolled: 1-line block ×6, first 2 shown]
	v_add_f32_e32 v33, v45, v0
	v_sub_f32_e32 v34, v53, v44
	v_add_f32_e32 v35, v52, v43
	v_sub_f32_e32 v36, v54, v47
	v_sub_f32_e32 v37, v39, v46
	v_add_f32_e32 v38, v42, v40
	v_add_f32_e32 v39, v46, v39
	v_sub_f32_e32 v40, v40, v42
	v_sub_f32_e32 v41, v43, v52
	v_add_f32_e32 v42, v47, v54
	v_sub_f32_e32 v43, v0, v45
	v_add_f32_e32 v44, v44, v53
	ds_write_b64 v49, v[3:4]
	ds_write_b64 v49, v[5:6] offset:312
	ds_write_b64 v49, v[7:8] offset:624
	;; [unrolled: 1-line block ×6, first 2 shown]
	ds_write2_b64 v2, v[17:18], v[19:20] offset1:39
	ds_write2_b64 v2, v[21:22], v[23:24] offset0:78 offset1:117
	ds_write2_b64 v2, v[25:26], v[27:28] offset0:156 offset1:195
	ds_write_b64 v2, v[29:30] offset:1872
	ds_write_b64 v49, v[31:32] offset:208
	;; [unrolled: 1-line block ×8, first 2 shown]
	s_waitcnt lgkmcnt(0)
	; wave barrier
	s_waitcnt lgkmcnt(0)
	s_and_saveexec_b64 s[0:1], vcc
	s_cbranch_execz .LBB0_17
; %bb.16:
	v_mov_b32_e32 v49, v1
	v_mov_b32_e32 v4, s3
	v_add_co_u32_e32 v10, vcc, s2, v50
	v_lshlrev_b64 v[8:9], 3, v[48:49]
	ds_read2_b64 v[0:3], v56 offset1:13
	v_addc_co_u32_e32 v11, vcc, v4, v51, vcc
	ds_read2_b64 v[4:7], v56 offset0:26 offset1:39
	v_add_co_u32_e32 v12, vcc, v10, v8
	v_addc_co_u32_e32 v13, vcc, v11, v9, vcc
	ds_read2_b64 v[8:11], v56 offset0:52 offset1:65
	s_waitcnt lgkmcnt(2)
	global_store_dwordx2 v[12:13], v[0:1], off
	global_store_dwordx2 v[12:13], v[2:3], off offset:104
	s_waitcnt lgkmcnt(1)
	global_store_dwordx2 v[12:13], v[4:5], off offset:208
	ds_read2_b64 v[0:3], v56 offset0:78 offset1:91
	global_store_dwordx2 v[12:13], v[6:7], off offset:312
	s_waitcnt lgkmcnt(1)
	global_store_dwordx2 v[12:13], v[8:9], off offset:416
	ds_read2_b64 v[4:7], v56 offset0:104 offset1:117
	;; [unrolled: 4-line block ×5, first 2 shown]
	global_store_dwordx2 v[12:13], v[10:11], off offset:1144
	s_waitcnt lgkmcnt(1)
	global_store_dwordx2 v[12:13], v[0:1], off offset:1248
	global_store_dwordx2 v[12:13], v[2:3], off offset:1352
	ds_read2_b64 v[0:3], v56 offset0:208 offset1:221
	ds_read2_b64 v[8:11], v56 offset0:234 offset1:247
	s_waitcnt lgkmcnt(2)
	global_store_dwordx2 v[12:13], v[4:5], off offset:1456
	ds_read_b64 v[4:5], v56 offset:2080
	global_store_dwordx2 v[12:13], v[6:7], off offset:1560
	s_waitcnt lgkmcnt(2)
	global_store_dwordx2 v[12:13], v[0:1], off offset:1664
	global_store_dwordx2 v[12:13], v[2:3], off offset:1768
	s_waitcnt lgkmcnt(1)
	global_store_dwordx2 v[12:13], v[8:9], off offset:1872
	;; [unrolled: 3-line block ×3, first 2 shown]
.LBB0_17:
	s_endpgm
	.section	.rodata,"a",@progbits
	.p2align	6, 0x0
	.amdhsa_kernel fft_rtc_fwd_len273_factors_13_3_7_wgs_52_tpt_13_sp_ip_CI_unitstride_sbrr_dirReg
		.amdhsa_group_segment_fixed_size 0
		.amdhsa_private_segment_fixed_size 0
		.amdhsa_kernarg_size 88
		.amdhsa_user_sgpr_count 6
		.amdhsa_user_sgpr_private_segment_buffer 1
		.amdhsa_user_sgpr_dispatch_ptr 0
		.amdhsa_user_sgpr_queue_ptr 0
		.amdhsa_user_sgpr_kernarg_segment_ptr 1
		.amdhsa_user_sgpr_dispatch_id 0
		.amdhsa_user_sgpr_flat_scratch_init 0
		.amdhsa_user_sgpr_private_segment_size 0
		.amdhsa_uses_dynamic_stack 0
		.amdhsa_system_sgpr_private_segment_wavefront_offset 0
		.amdhsa_system_sgpr_workgroup_id_x 1
		.amdhsa_system_sgpr_workgroup_id_y 0
		.amdhsa_system_sgpr_workgroup_id_z 0
		.amdhsa_system_sgpr_workgroup_info 0
		.amdhsa_system_vgpr_workitem_id 0
		.amdhsa_next_free_vgpr 125
		.amdhsa_next_free_sgpr 22
		.amdhsa_reserve_vcc 1
		.amdhsa_reserve_flat_scratch 0
		.amdhsa_float_round_mode_32 0
		.amdhsa_float_round_mode_16_64 0
		.amdhsa_float_denorm_mode_32 3
		.amdhsa_float_denorm_mode_16_64 3
		.amdhsa_dx10_clamp 1
		.amdhsa_ieee_mode 1
		.amdhsa_fp16_overflow 0
		.amdhsa_exception_fp_ieee_invalid_op 0
		.amdhsa_exception_fp_denorm_src 0
		.amdhsa_exception_fp_ieee_div_zero 0
		.amdhsa_exception_fp_ieee_overflow 0
		.amdhsa_exception_fp_ieee_underflow 0
		.amdhsa_exception_fp_ieee_inexact 0
		.amdhsa_exception_int_div_zero 0
	.end_amdhsa_kernel
	.text
.Lfunc_end0:
	.size	fft_rtc_fwd_len273_factors_13_3_7_wgs_52_tpt_13_sp_ip_CI_unitstride_sbrr_dirReg, .Lfunc_end0-fft_rtc_fwd_len273_factors_13_3_7_wgs_52_tpt_13_sp_ip_CI_unitstride_sbrr_dirReg
                                        ; -- End function
	.section	.AMDGPU.csdata,"",@progbits
; Kernel info:
; codeLenInByte = 11120
; NumSgprs: 26
; NumVgprs: 125
; ScratchSize: 0
; MemoryBound: 0
; FloatMode: 240
; IeeeMode: 1
; LDSByteSize: 0 bytes/workgroup (compile time only)
; SGPRBlocks: 3
; VGPRBlocks: 31
; NumSGPRsForWavesPerEU: 26
; NumVGPRsForWavesPerEU: 125
; Occupancy: 2
; WaveLimiterHint : 1
; COMPUTE_PGM_RSRC2:SCRATCH_EN: 0
; COMPUTE_PGM_RSRC2:USER_SGPR: 6
; COMPUTE_PGM_RSRC2:TRAP_HANDLER: 0
; COMPUTE_PGM_RSRC2:TGID_X_EN: 1
; COMPUTE_PGM_RSRC2:TGID_Y_EN: 0
; COMPUTE_PGM_RSRC2:TGID_Z_EN: 0
; COMPUTE_PGM_RSRC2:TIDIG_COMP_CNT: 0
	.type	__hip_cuid_9be05e9b5abcfd03,@object ; @__hip_cuid_9be05e9b5abcfd03
	.section	.bss,"aw",@nobits
	.globl	__hip_cuid_9be05e9b5abcfd03
__hip_cuid_9be05e9b5abcfd03:
	.byte	0                               ; 0x0
	.size	__hip_cuid_9be05e9b5abcfd03, 1

	.ident	"AMD clang version 19.0.0git (https://github.com/RadeonOpenCompute/llvm-project roc-6.4.0 25133 c7fe45cf4b819c5991fe208aaa96edf142730f1d)"
	.section	".note.GNU-stack","",@progbits
	.addrsig
	.addrsig_sym __hip_cuid_9be05e9b5abcfd03
	.amdgpu_metadata
---
amdhsa.kernels:
  - .args:
      - .actual_access:  read_only
        .address_space:  global
        .offset:         0
        .size:           8
        .value_kind:     global_buffer
      - .offset:         8
        .size:           8
        .value_kind:     by_value
      - .actual_access:  read_only
        .address_space:  global
        .offset:         16
        .size:           8
        .value_kind:     global_buffer
      - .actual_access:  read_only
        .address_space:  global
        .offset:         24
        .size:           8
        .value_kind:     global_buffer
      - .offset:         32
        .size:           8
        .value_kind:     by_value
      - .actual_access:  read_only
        .address_space:  global
        .offset:         40
        .size:           8
        .value_kind:     global_buffer
      - .actual_access:  read_only
        .address_space:  global
        .offset:         48
        .size:           8
        .value_kind:     global_buffer
      - .offset:         56
        .size:           4
        .value_kind:     by_value
      - .actual_access:  read_only
        .address_space:  global
        .offset:         64
        .size:           8
        .value_kind:     global_buffer
      - .actual_access:  read_only
        .address_space:  global
        .offset:         72
        .size:           8
        .value_kind:     global_buffer
      - .address_space:  global
        .offset:         80
        .size:           8
        .value_kind:     global_buffer
    .group_segment_fixed_size: 0
    .kernarg_segment_align: 8
    .kernarg_segment_size: 88
    .language:       OpenCL C
    .language_version:
      - 2
      - 0
    .max_flat_workgroup_size: 52
    .name:           fft_rtc_fwd_len273_factors_13_3_7_wgs_52_tpt_13_sp_ip_CI_unitstride_sbrr_dirReg
    .private_segment_fixed_size: 0
    .sgpr_count:     26
    .sgpr_spill_count: 0
    .symbol:         fft_rtc_fwd_len273_factors_13_3_7_wgs_52_tpt_13_sp_ip_CI_unitstride_sbrr_dirReg.kd
    .uniform_work_group_size: 1
    .uses_dynamic_stack: false
    .vgpr_count:     125
    .vgpr_spill_count: 0
    .wavefront_size: 64
amdhsa.target:   amdgcn-amd-amdhsa--gfx906
amdhsa.version:
  - 1
  - 2
...

	.end_amdgpu_metadata
